;; amdgpu-corpus repo=llvm/llvm-project kind=harvested arch=n/a opt=n/a
// NOTE: Assertions have been autogenerated by utils/update_mc_test_checks.py UTC_ARGS: --unique --sort --version 6
// RUN: not llvm-mc -triple=amdgcn -mcpu=gfx1200 %s -filetype=null 2>&1 | FileCheck --implicit-check-not=error: %s

//===----------------------------------------------------------------------===//
// Unsupported instructions.
//===----------------------------------------------------------------------===//

buffer_atomic_cmpswap_f32 v[5:6], off, s[96:99], s3
// CHECK: :[[@LINE-1]]:1: error: instruction not supported on this GPU (gfx1200): buffer_atomic_cmpswap_f32

buffer_gl0_inv
// CHECK: :[[@LINE-1]]:1: error: instruction not supported on this GPU (gfx1200): buffer_gl0_inv

buffer_gl1_inv
// CHECK: :[[@LINE-1]]:1: error: instruction not supported on this GPU (gfx1200): buffer_gl1_inv

buffer_store_lds_dword s[4:7], -1 offset:4095 lds
// CHECK: :[[@LINE-1]]:1: error: instruction not supported on this GPU (gfx1200): buffer_store_lds_dword

buffer_wbinvl1
// CHECK: :[[@LINE-1]]:1: error: instruction not supported on this GPU (gfx1200): buffer_wbinvl1

buffer_wbinvl1_vol
// CHECK: :[[@LINE-1]]:1: error: instruction not supported on this GPU (gfx1200): buffer_wbinvl1_vol

ds_add_f32 v255, v255 offset:4 gds
// CHECK: :[[@LINE-1]]:32: error: gds modifier is not supported on this GPU

ds_add_gs_reg_rtn v[0:1], v2 gds
// CHECK: :[[@LINE-1]]:1: error: instruction not supported on this GPU (gfx1200): ds_add_gs_reg_rtn

ds_cmpstore_f32 v0, v1, v2
// CHECK: :[[@LINE-1]]:1: error: instruction not supported on this GPU (gfx1200): ds_cmpstore_f32

ds_cmpstore_f64 v0, v[1:2], v[3:4]
// CHECK: :[[@LINE-1]]:1: error: instruction not supported on this GPU (gfx1200): ds_cmpstore_f64

ds_cmpstore_rtn_f32 v0, v1, v2, v3
// CHECK: :[[@LINE-1]]:1: error: instruction not supported on this GPU (gfx1200): ds_cmpstore_rtn_f32

ds_cmpstore_rtn_f64 v[0:1], v2, v[3:4], v[5:6]
// CHECK: :[[@LINE-1]]:1: error: instruction not supported on this GPU (gfx1200): ds_cmpstore_rtn_f64

ds_gws_barrier v0 gds
// CHECK: :[[@LINE-1]]:1: error: instruction not supported on this GPU (gfx1200): ds_gws_barrier

ds_gws_init v0 gds
// CHECK: :[[@LINE-1]]:1: error: instruction not supported on this GPU (gfx1200): ds_gws_init

ds_gws_sema_br v0 gds
// CHECK: :[[@LINE-1]]:1: error: instruction not supported on this GPU (gfx1200): ds_gws_sema_br

ds_gws_sema_p gds
// CHECK: :[[@LINE-1]]:1: error: instruction not supported on this GPU (gfx1200): ds_gws_sema_p

ds_gws_sema_release_all gds
// CHECK: :[[@LINE-1]]:1: error: instruction not supported on this GPU (gfx1200): ds_gws_sema_release_all

ds_gws_sema_v gds
// CHECK: :[[@LINE-1]]:1: error: instruction not supported on this GPU (gfx1200): ds_gws_sema_v

ds_ordered_count v0, v1 gds
// CHECK: :[[@LINE-1]]:1: error: instruction not supported on this GPU (gfx1200): ds_ordered_count

ds_sub_gs_reg_rtn v[0:1], v2 gds
// CHECK: :[[@LINE-1]]:1: error: instruction not supported on this GPU (gfx1200): ds_sub_gs_reg_rtn

ds_wrap_rtn_b32 v0, v1, v2, v3
// CHECK: :[[@LINE-1]]:1: error: instruction not supported on this GPU (gfx1200): ds_wrap_rtn_b32

flat_atomic_cmpswap_f32 v[5:6], off, s[96:99], s3
// CHECK: :[[@LINE-1]]:1: error: instruction not supported on this GPU (gfx1200): flat_atomic_cmpswap_f32

flat_atomic_csub v1, v[0:1], v2 offset:64 th:TH_ATOMIC_RETURN
// CHECK: :[[@LINE-1]]:1: error: invalid instruction

global_atomic_cmpswap_f32 v[5:6], off, s[96:99], s3
// CHECK: :[[@LINE-1]]:1: error: instruction not supported on this GPU (gfx1200): global_atomic_cmpswap_f32

s_barrier
// CHECK: :[[@LINE-1]]:1: error: instruction not supported on this GPU (gfx1200): s_barrier

s_cbranch_cdbgsys 0
// CHECK: :[[@LINE-1]]:1: error: instruction not supported on this GPU (gfx1200): s_cbranch_cdbgsys

s_cbranch_cdbgsys_and_user 0
// CHECK: :[[@LINE-1]]:1: error: instruction not supported on this GPU (gfx1200): s_cbranch_cdbgsys_and_user

s_cbranch_cdbgsys_or_user 0
// CHECK: :[[@LINE-1]]:1: error: instruction not supported on this GPU (gfx1200): s_cbranch_cdbgsys_or_user

s_cbranch_cdbguser 0
// CHECK: :[[@LINE-1]]:1: error: instruction not supported on this GPU (gfx1200): s_cbranch_cdbguser

s_cmpk_eq_i32 s0, 0
// CHECK: :[[@LINE-1]]:1: error: instruction not supported on this GPU (gfx1200): s_cmpk_eq_i32

s_cmpk_eq_u32 s0, 0
// CHECK: :[[@LINE-1]]:1: error: instruction not supported on this GPU (gfx1200): s_cmpk_eq_u32

s_cmpk_ge_i32 s0, 0
// CHECK: :[[@LINE-1]]:1: error: instruction not supported on this GPU (gfx1200): s_cmpk_ge_i32

s_cmpk_ge_u32 s0, 0
// CHECK: :[[@LINE-1]]:1: error: instruction not supported on this GPU (gfx1200): s_cmpk_ge_u32

s_cmpk_gt_i32 s0, 0
// CHECK: :[[@LINE-1]]:1: error: instruction not supported on this GPU (gfx1200): s_cmpk_gt_i32

s_cmpk_gt_u32 s0, 0
// CHECK: :[[@LINE-1]]:1: error: instruction not supported on this GPU (gfx1200): s_cmpk_gt_u32

s_cmpk_le_i32 s0, 0
// CHECK: :[[@LINE-1]]:1: error: instruction not supported on this GPU (gfx1200): s_cmpk_le_i32

s_cmpk_le_u32 s0, 0
// CHECK: :[[@LINE-1]]:1: error: instruction not supported on this GPU (gfx1200): s_cmpk_le_u32

s_cmpk_lg_i32 s0, 0
// CHECK: :[[@LINE-1]]:1: error: instruction not supported on this GPU (gfx1200): s_cmpk_lg_i32

s_cmpk_lg_u32 s0, 0
// CHECK: :[[@LINE-1]]:1: error: instruction not supported on this GPU (gfx1200): s_cmpk_lg_u32

s_cmpk_lt_i32 s0, 0
// CHECK: :[[@LINE-1]]:1: error: instruction not supported on this GPU (gfx1200): s_cmpk_lt_i32

s_cmpk_lt_u32 s0, 0
// CHECK: :[[@LINE-1]]:1: error: instruction not supported on this GPU (gfx1200): s_cmpk_lt_u32

s_inst_prefetch 1
// CHECK: :[[@LINE-1]]:1: error: instruction not supported on this GPU (gfx1200): s_inst_prefetch

s_subvector_loop_begin s0, 0x1234
// CHECK: :[[@LINE-1]]:1: error: instruction not supported on this GPU (gfx1200): s_subvector_loop_begin

s_subvector_loop_end s0, 0x1234
// CHECK: :[[@LINE-1]]:1: error: instruction not supported on this GPU (gfx1200): s_subvector_loop_end

s_waitcnt_expcnt exec_hi, 0x1234
// CHECK: :[[@LINE-1]]:1: error: instruction not supported on this GPU (gfx1200): s_waitcnt_expcnt

s_waitcnt_lgkmcnt exec_hi, 0x1234
// CHECK: :[[@LINE-1]]:1: error: instruction not supported on this GPU (gfx1200): s_waitcnt_lgkmcnt

s_waitcnt_vmcnt exec_hi, 0x1234
// CHECK: :[[@LINE-1]]:1: error: instruction not supported on this GPU (gfx1200): s_waitcnt_vmcnt

s_waitcnt_vscnt exec_hi, 0x1234
// CHECK: :[[@LINE-1]]:1: error: instruction not supported on this GPU (gfx1200): s_waitcnt_vscnt

v_cmp_f_f16 v0, v1
// CHECK: :[[@LINE-1]]:1: error: instruction not supported on this GPU (gfx1200): v_cmp_f_f16

v_cmp_f_f32 v0, v1
// CHECK: :[[@LINE-1]]:1: error: instruction not supported on this GPU (gfx1200): v_cmp_f_f32

v_cmp_f_f64 v[0:1], v[2:3]
// CHECK: :[[@LINE-1]]:1: error: instruction not supported on this GPU (gfx1200): v_cmp_f_f64

v_cmp_f_i32 v0, v1
// CHECK: :[[@LINE-1]]:1: error: instruction not supported on this GPU (gfx1200): v_cmp_f_i32

v_cmp_f_i64 v[0:1], v[2:3]
// CHECK: :[[@LINE-1]]:1: error: instruction not supported on this GPU (gfx1200): v_cmp_f_i64

v_cmp_f_u32 v0, v1
// CHECK: :[[@LINE-1]]:1: error: instruction not supported on this GPU (gfx1200): v_cmp_f_u32

v_cmp_f_u64 v[0:1], v[2:3]
// CHECK: :[[@LINE-1]]:1: error: instruction not supported on this GPU (gfx1200): v_cmp_f_u64

v_cmp_t_f16 v0, v1
// CHECK: :[[@LINE-1]]:1: error: instruction not supported on this GPU (gfx1200): v_cmp_t_f16

v_cmp_t_f32 v0, v1
// CHECK: :[[@LINE-1]]:1: error: instruction not supported on this GPU (gfx1200): v_cmp_t_f32

v_cmp_t_f64 v[0:1], v[2:3]
// CHECK: :[[@LINE-1]]:1: error: instruction not supported on this GPU (gfx1200): v_cmp_t_f64

v_cmp_t_i32 v0, v1
// CHECK: :[[@LINE-1]]:1: error: instruction not supported on this GPU (gfx1200): v_cmp_t_i32

v_cmp_t_i64 v[0:1], v[2:3]
// CHECK: :[[@LINE-1]]:1: error: instruction not supported on this GPU (gfx1200): v_cmp_t_i64

v_cmp_t_u32 v0, v1
// CHECK: :[[@LINE-1]]:1: error: instruction not supported on this GPU (gfx1200): v_cmp_t_u32

v_cmp_t_u64 v[0:1], v[2:3]
// CHECK: :[[@LINE-1]]:1: error: instruction not supported on this GPU (gfx1200): v_cmp_t_u64

v_cmpx_f_f16 v0, v1
// CHECK: :[[@LINE-1]]:1: error: instruction not supported on this GPU (gfx1200): v_cmpx_f_f16

v_cmpx_f_f32 v0, v1
// CHECK: :[[@LINE-1]]:1: error: instruction not supported on this GPU (gfx1200): v_cmpx_f_f32

v_cmpx_f_f64 v[0:1], v[2:3]
// CHECK: :[[@LINE-1]]:1: error: instruction not supported on this GPU (gfx1200): v_cmpx_f_f64

v_cmpx_f_i32 v0, v1
// CHECK: :[[@LINE-1]]:1: error: instruction not supported on this GPU (gfx1200): v_cmpx_f_i32

v_cmpx_f_i64 v[0:1], v[2:3]
// CHECK: :[[@LINE-1]]:1: error: instruction not supported on this GPU (gfx1200): v_cmpx_f_i64

v_cmpx_f_u32 v0, v1
// CHECK: :[[@LINE-1]]:1: error: instruction not supported on this GPU (gfx1200): v_cmpx_f_u32

v_cmpx_f_u64 v[0:1], v[2:3]
// CHECK: :[[@LINE-1]]:1: error: instruction not supported on this GPU (gfx1200): v_cmpx_f_u64

v_cmpx_t_f16 v0, v1
// CHECK: :[[@LINE-1]]:1: error: instruction not supported on this GPU (gfx1200): v_cmpx_t_f16

v_cmpx_t_f32 v0, v1
// CHECK: :[[@LINE-1]]:1: error: instruction not supported on this GPU (gfx1200): v_cmpx_t_f32

v_cmpx_t_f64 v[0:1], v[2:3]
// CHECK: :[[@LINE-1]]:1: error: instruction not supported on this GPU (gfx1200): v_cmpx_t_f64

v_cmpx_t_i32 v0, v1
// CHECK: :[[@LINE-1]]:1: error: instruction not supported on this GPU (gfx1200): v_cmpx_t_i32

v_cmpx_t_i64 v[0:1], v[2:3]
// CHECK: :[[@LINE-1]]:1: error: instruction not supported on this GPU (gfx1200): v_cmpx_t_i64

v_cmpx_t_u32 v0, v1
// CHECK: :[[@LINE-1]]:1: error: instruction not supported on this GPU (gfx1200): v_cmpx_t_u32

v_cmpx_t_u64 v[0:1], v[2:3]
// CHECK: :[[@LINE-1]]:1: error: instruction not supported on this GPU (gfx1200): v_cmpx_t_u64

v_dot2c_f32_f16 v0, v1, v2
// CHECK: :[[@LINE-1]]:1: error: instruction not supported on this GPU (gfx1200): v_dot2c_f32_f16

v_dual_max_f32 v0, v1, v2 :: v_dual_max_f32 v3, v4, v5
// CHECK: :[[@LINE-1]]:1: error: instruction not supported on this GPU (gfx1200): v_dual_max_f32

v_dual_min_f32 v0, v1, v2 :: v_dual_min_f32 v3, v4, v5
// CHECK: :[[@LINE-1]]:1: error: instruction not supported on this GPU (gfx1200): v_dual_min_f32

v_fmac_legacy_f32 v0, v1, v2
// CHECK: :[[@LINE-1]]:1: error: instruction not supported on this GPU (gfx1200): v_fmac_legacy_f32

v_mfma_f32_16x16x8_xf32 a[0:3], v[2:3], v[4:5], a[2:5]
// CHECK: :[[@LINE-1]]:1: error: instruction not supported on this GPU (gfx1200): v_mfma_f32_16x16x8_xf32

v_mfma_f32_16x16x8xf32 a[0:3], v[2:3], v[4:5], a[2:5]
// CHECK: :[[@LINE-1]]:1: error: instruction not supported on this GPU (gfx1200): v_mfma_f32_16x16x8xf32

v_mfma_f32_32x32x4_xf32 a[0:15], v[2:3], v[4:5], a[18:33]
// CHECK: :[[@LINE-1]]:1: error: instruction not supported on this GPU (gfx1200): v_mfma_f32_32x32x4_xf32

v_mfma_f32_32x32x4xf32 a[0:15], v[2:3], v[4:5], a[18:33]
// CHECK: :[[@LINE-1]]:1: error: instruction not supported on this GPU (gfx1200): v_mfma_f32_32x32x4xf32
